;; amdgpu-corpus repo=ROCm/rocFFT kind=compiled arch=gfx1030 opt=O3
	.text
	.amdgcn_target "amdgcn-amd-amdhsa--gfx1030"
	.amdhsa_code_object_version 6
	.protected	fft_rtc_back_len182_factors_13_2_7_wgs_52_tpt_13_sp_ip_CI_unitstride_sbrr_C2R_dirReg ; -- Begin function fft_rtc_back_len182_factors_13_2_7_wgs_52_tpt_13_sp_ip_CI_unitstride_sbrr_C2R_dirReg
	.globl	fft_rtc_back_len182_factors_13_2_7_wgs_52_tpt_13_sp_ip_CI_unitstride_sbrr_C2R_dirReg
	.p2align	8
	.type	fft_rtc_back_len182_factors_13_2_7_wgs_52_tpt_13_sp_ip_CI_unitstride_sbrr_C2R_dirReg,@function
fft_rtc_back_len182_factors_13_2_7_wgs_52_tpt_13_sp_ip_CI_unitstride_sbrr_C2R_dirReg: ; @fft_rtc_back_len182_factors_13_2_7_wgs_52_tpt_13_sp_ip_CI_unitstride_sbrr_C2R_dirReg
; %bb.0:
	s_clause 0x2
	s_load_dwordx4 s[8:11], s[4:5], 0x0
	s_load_dwordx2 s[2:3], s[4:5], 0x50
	s_load_dwordx2 s[12:13], s[4:5], 0x18
	v_mul_u32_u24_e32 v1, 0x13b2, v0
	v_mov_b32_e32 v3, 0
	v_lshrrev_b32_e32 v9, 16, v1
	v_mov_b32_e32 v1, 0
	v_mov_b32_e32 v6, v3
	v_mov_b32_e32 v2, 0
	v_lshl_add_u32 v5, s6, 2, v9
	s_waitcnt lgkmcnt(0)
	v_cmp_lt_u64_e64 s0, s[10:11], 2
	s_and_b32 vcc_lo, exec_lo, s0
	s_cbranch_vccnz .LBB0_8
; %bb.1:
	s_load_dwordx2 s[0:1], s[4:5], 0x10
	v_mov_b32_e32 v1, 0
	s_add_u32 s6, s12, 8
	v_mov_b32_e32 v2, 0
	s_addc_u32 s7, s13, 0
	s_mov_b64 s[16:17], 1
	s_waitcnt lgkmcnt(0)
	s_add_u32 s14, s0, 8
	s_addc_u32 s15, s1, 0
.LBB0_2:                                ; =>This Inner Loop Header: Depth=1
	s_load_dwordx2 s[18:19], s[14:15], 0x0
                                        ; implicit-def: $vgpr7_vgpr8
	s_mov_b32 s0, exec_lo
	s_waitcnt lgkmcnt(0)
	v_or_b32_e32 v4, s19, v6
	v_cmpx_ne_u64_e32 0, v[3:4]
	s_xor_b32 s1, exec_lo, s0
	s_cbranch_execz .LBB0_4
; %bb.3:                                ;   in Loop: Header=BB0_2 Depth=1
	v_cvt_f32_u32_e32 v4, s18
	v_cvt_f32_u32_e32 v7, s19
	s_sub_u32 s0, 0, s18
	s_subb_u32 s20, 0, s19
	v_fmac_f32_e32 v4, 0x4f800000, v7
	v_rcp_f32_e32 v4, v4
	v_mul_f32_e32 v4, 0x5f7ffffc, v4
	v_mul_f32_e32 v7, 0x2f800000, v4
	v_trunc_f32_e32 v7, v7
	v_fmac_f32_e32 v4, 0xcf800000, v7
	v_cvt_u32_f32_e32 v7, v7
	v_cvt_u32_f32_e32 v4, v4
	v_mul_lo_u32 v8, s0, v7
	v_mul_hi_u32 v10, s0, v4
	v_mul_lo_u32 v11, s20, v4
	v_add_nc_u32_e32 v8, v10, v8
	v_mul_lo_u32 v10, s0, v4
	v_add_nc_u32_e32 v8, v8, v11
	v_mul_hi_u32 v11, v4, v10
	v_mul_lo_u32 v12, v4, v8
	v_mul_hi_u32 v13, v4, v8
	v_mul_hi_u32 v14, v7, v10
	v_mul_lo_u32 v10, v7, v10
	v_mul_hi_u32 v15, v7, v8
	v_mul_lo_u32 v8, v7, v8
	v_add_co_u32 v11, vcc_lo, v11, v12
	v_add_co_ci_u32_e32 v12, vcc_lo, 0, v13, vcc_lo
	v_add_co_u32 v10, vcc_lo, v11, v10
	v_add_co_ci_u32_e32 v10, vcc_lo, v12, v14, vcc_lo
	v_add_co_ci_u32_e32 v11, vcc_lo, 0, v15, vcc_lo
	v_add_co_u32 v8, vcc_lo, v10, v8
	v_add_co_ci_u32_e32 v10, vcc_lo, 0, v11, vcc_lo
	v_add_co_u32 v4, vcc_lo, v4, v8
	v_add_co_ci_u32_e32 v7, vcc_lo, v7, v10, vcc_lo
	v_mul_hi_u32 v8, s0, v4
	v_mul_lo_u32 v11, s20, v4
	v_mul_lo_u32 v10, s0, v7
	v_add_nc_u32_e32 v8, v8, v10
	v_mul_lo_u32 v10, s0, v4
	v_add_nc_u32_e32 v8, v8, v11
	v_mul_hi_u32 v11, v4, v10
	v_mul_lo_u32 v12, v4, v8
	v_mul_hi_u32 v13, v4, v8
	v_mul_hi_u32 v14, v7, v10
	v_mul_lo_u32 v10, v7, v10
	v_mul_hi_u32 v15, v7, v8
	v_mul_lo_u32 v8, v7, v8
	v_add_co_u32 v11, vcc_lo, v11, v12
	v_add_co_ci_u32_e32 v12, vcc_lo, 0, v13, vcc_lo
	v_add_co_u32 v10, vcc_lo, v11, v10
	v_add_co_ci_u32_e32 v10, vcc_lo, v12, v14, vcc_lo
	v_add_co_ci_u32_e32 v11, vcc_lo, 0, v15, vcc_lo
	v_add_co_u32 v8, vcc_lo, v10, v8
	v_add_co_ci_u32_e32 v10, vcc_lo, 0, v11, vcc_lo
	v_add_co_u32 v4, vcc_lo, v4, v8
	v_add_co_ci_u32_e32 v12, vcc_lo, v7, v10, vcc_lo
	v_mul_hi_u32 v14, v5, v4
	v_mad_u64_u32 v[10:11], null, v6, v4, 0
	v_mad_u64_u32 v[7:8], null, v5, v12, 0
	;; [unrolled: 1-line block ×3, first 2 shown]
	v_add_co_u32 v4, vcc_lo, v14, v7
	v_add_co_ci_u32_e32 v7, vcc_lo, 0, v8, vcc_lo
	v_add_co_u32 v4, vcc_lo, v4, v10
	v_add_co_ci_u32_e32 v4, vcc_lo, v7, v11, vcc_lo
	v_add_co_ci_u32_e32 v7, vcc_lo, 0, v13, vcc_lo
	v_add_co_u32 v4, vcc_lo, v4, v12
	v_add_co_ci_u32_e32 v10, vcc_lo, 0, v7, vcc_lo
	v_mul_lo_u32 v11, s19, v4
	v_mad_u64_u32 v[7:8], null, s18, v4, 0
	v_mul_lo_u32 v12, s18, v10
	v_sub_co_u32 v7, vcc_lo, v5, v7
	v_add3_u32 v8, v8, v12, v11
	v_sub_nc_u32_e32 v11, v6, v8
	v_subrev_co_ci_u32_e64 v11, s0, s19, v11, vcc_lo
	v_add_co_u32 v12, s0, v4, 2
	v_add_co_ci_u32_e64 v13, s0, 0, v10, s0
	v_sub_co_u32 v14, s0, v7, s18
	v_sub_co_ci_u32_e32 v8, vcc_lo, v6, v8, vcc_lo
	v_subrev_co_ci_u32_e64 v11, s0, 0, v11, s0
	v_cmp_le_u32_e32 vcc_lo, s18, v14
	v_cmp_eq_u32_e64 s0, s19, v8
	v_cndmask_b32_e64 v14, 0, -1, vcc_lo
	v_cmp_le_u32_e32 vcc_lo, s19, v11
	v_cndmask_b32_e64 v15, 0, -1, vcc_lo
	v_cmp_le_u32_e32 vcc_lo, s18, v7
	;; [unrolled: 2-line block ×3, first 2 shown]
	v_cndmask_b32_e64 v16, 0, -1, vcc_lo
	v_cmp_eq_u32_e32 vcc_lo, s19, v11
	v_cndmask_b32_e64 v7, v16, v7, s0
	v_cndmask_b32_e32 v11, v15, v14, vcc_lo
	v_add_co_u32 v14, vcc_lo, v4, 1
	v_add_co_ci_u32_e32 v15, vcc_lo, 0, v10, vcc_lo
	v_cmp_ne_u32_e32 vcc_lo, 0, v11
	v_cndmask_b32_e32 v8, v15, v13, vcc_lo
	v_cndmask_b32_e32 v11, v14, v12, vcc_lo
	v_cmp_ne_u32_e32 vcc_lo, 0, v7
	v_cndmask_b32_e32 v8, v10, v8, vcc_lo
	v_cndmask_b32_e32 v7, v4, v11, vcc_lo
.LBB0_4:                                ;   in Loop: Header=BB0_2 Depth=1
	s_andn2_saveexec_b32 s0, s1
	s_cbranch_execz .LBB0_6
; %bb.5:                                ;   in Loop: Header=BB0_2 Depth=1
	v_cvt_f32_u32_e32 v4, s18
	s_sub_i32 s1, 0, s18
	v_rcp_iflag_f32_e32 v4, v4
	v_mul_f32_e32 v4, 0x4f7ffffe, v4
	v_cvt_u32_f32_e32 v4, v4
	v_mul_lo_u32 v7, s1, v4
	v_mul_hi_u32 v7, v4, v7
	v_add_nc_u32_e32 v4, v4, v7
	v_mul_hi_u32 v4, v5, v4
	v_mul_lo_u32 v7, v4, s18
	v_add_nc_u32_e32 v8, 1, v4
	v_sub_nc_u32_e32 v7, v5, v7
	v_subrev_nc_u32_e32 v10, s18, v7
	v_cmp_le_u32_e32 vcc_lo, s18, v7
	v_cndmask_b32_e32 v7, v7, v10, vcc_lo
	v_cndmask_b32_e32 v4, v4, v8, vcc_lo
	v_cmp_le_u32_e32 vcc_lo, s18, v7
	v_add_nc_u32_e32 v8, 1, v4
	v_cndmask_b32_e32 v7, v4, v8, vcc_lo
	v_mov_b32_e32 v8, v3
.LBB0_6:                                ;   in Loop: Header=BB0_2 Depth=1
	s_or_b32 exec_lo, exec_lo, s0
	s_load_dwordx2 s[0:1], s[6:7], 0x0
	v_mul_lo_u32 v4, v8, s18
	v_mul_lo_u32 v12, v7, s19
	v_mad_u64_u32 v[10:11], null, v7, s18, 0
	s_add_u32 s16, s16, 1
	s_addc_u32 s17, s17, 0
	s_add_u32 s6, s6, 8
	s_addc_u32 s7, s7, 0
	;; [unrolled: 2-line block ×3, first 2 shown]
	v_add3_u32 v4, v11, v12, v4
	v_sub_co_u32 v5, vcc_lo, v5, v10
	v_sub_co_ci_u32_e32 v4, vcc_lo, v6, v4, vcc_lo
	s_waitcnt lgkmcnt(0)
	v_mul_lo_u32 v6, s1, v5
	v_mul_lo_u32 v4, s0, v4
	v_mad_u64_u32 v[1:2], null, s0, v5, v[1:2]
	v_cmp_ge_u64_e64 s0, s[16:17], s[10:11]
	s_and_b32 vcc_lo, exec_lo, s0
	v_add3_u32 v2, v6, v2, v4
	s_cbranch_vccnz .LBB0_9
; %bb.7:                                ;   in Loop: Header=BB0_2 Depth=1
	v_mov_b32_e32 v5, v7
	v_mov_b32_e32 v6, v8
	s_branch .LBB0_2
.LBB0_8:
	v_mov_b32_e32 v8, v6
	v_mov_b32_e32 v7, v5
.LBB0_9:
	s_lshl_b64 s[0:1], s[10:11], 3
	v_mul_hi_u32 v4, 0x13b13b14, v0
	s_add_u32 s0, s12, s0
	s_addc_u32 s1, s13, s1
	s_load_dwordx2 s[0:1], s[0:1], 0x0
	s_load_dwordx2 s[4:5], s[4:5], 0x20
	v_mul_u32_u24_e32 v4, 13, v4
	v_sub_nc_u32_e32 v0, v0, v4
	v_mov_b32_e32 v48, v0
	s_waitcnt lgkmcnt(0)
	v_mul_lo_u32 v5, s0, v8
	v_mul_lo_u32 v6, s1, v7
	v_mad_u64_u32 v[2:3], null, s0, v7, v[1:2]
	v_and_b32_e32 v1, 3, v9
	v_cmp_gt_u64_e32 vcc_lo, s[4:5], v[7:8]
	v_add3_u32 v3, v6, v3, v5
	v_mul_u32_u24_e32 v6, 0xb7, v1
	v_mov_b32_e32 v1, 0
	v_lshlrev_b64 v[50:51], 3, v[2:3]
	v_lshlrev_b32_e32 v58, 3, v6
	s_and_saveexec_b32 s1, vcc_lo
	s_cbranch_execz .LBB0_13
; %bb.10:
	v_lshlrev_b64 v[4:5], 3, v[0:1]
	v_add_co_u32 v2, s0, s2, v50
	v_add_co_ci_u32_e64 v3, s0, s3, v51, s0
	s_mov_b32 s4, exec_lo
	v_add_co_u32 v4, s0, v2, v4
	v_add_co_ci_u32_e64 v5, s0, v3, v5, s0
	s_clause 0xd
	global_load_dwordx2 v[8:9], v[4:5], off
	global_load_dwordx2 v[10:11], v[4:5], off offset:104
	global_load_dwordx2 v[12:13], v[4:5], off offset:208
	;; [unrolled: 1-line block ×13, first 2 shown]
	v_lshlrev_b32_e32 v4, 3, v0
	v_add3_u32 v7, 0, v58, v4
	v_mov_b32_e32 v5, v1
	v_mov_b32_e32 v4, v0
	s_waitcnt vmcnt(12)
	ds_write2_b64 v7, v[8:9], v[10:11] offset1:13
	s_waitcnt vmcnt(10)
	ds_write2_b64 v7, v[12:13], v[14:15] offset0:26 offset1:39
	s_waitcnt vmcnt(8)
	ds_write2_b64 v7, v[16:17], v[18:19] offset0:52 offset1:65
	;; [unrolled: 2-line block ×6, first 2 shown]
	v_cmpx_eq_u32_e32 12, v0
	s_cbranch_execz .LBB0_12
; %bb.11:
	global_load_dwordx2 v[1:2], v[2:3], off offset:1456
	v_mov_b32_e32 v4, 12
	v_mov_b32_e32 v5, 0
	;; [unrolled: 1-line block ×3, first 2 shown]
	s_waitcnt vmcnt(0)
	ds_write_b64 v7, v[1:2] offset:1360
.LBB0_12:
	s_or_b32 exec_lo, exec_lo, s4
	v_mov_b32_e32 v48, v0
	v_mov_b32_e32 v0, v4
	;; [unrolled: 1-line block ×3, first 2 shown]
.LBB0_13:
	s_or_b32 exec_lo, exec_lo, s1
	v_lshl_add_u32 v56, v6, 3, 0
	v_lshlrev_b32_e32 v2, 3, v48
	s_waitcnt lgkmcnt(0)
	s_barrier
	buffer_gl0_inv
	v_lshlrev_b64 v[52:53], 3, v[0:1]
	v_add_nc_u32_e32 v57, v56, v2
	v_sub_nc_u32_e32 v2, v56, v2
	v_cmp_eq_u32_e64 s0, 0, v48
	s_mov_b32 s4, exec_lo
	ds_read_b32 v3, v57
	ds_read_b32 v4, v2 offset:1456
	s_waitcnt lgkmcnt(0)
	v_add_f32_e32 v0, v4, v3
	v_sub_f32_e32 v1, v3, v4
	v_cmpx_ne_u32_e32 0, v48
	s_xor_b32 s4, exec_lo, s4
	s_cbranch_execz .LBB0_15
; %bb.14:
	v_add_co_u32 v0, s1, s8, v52
	v_add_co_ci_u32_e64 v1, s1, s9, v53, s1
	v_add_f32_e32 v7, v4, v3
	v_sub_f32_e32 v8, v3, v4
	global_load_dwordx2 v[5:6], v[0:1], off offset:1352
	ds_read_b32 v0, v2 offset:1460
	ds_read_b32 v1, v57 offset:4
	s_waitcnt lgkmcnt(0)
	v_add_f32_e32 v9, v0, v1
	v_sub_f32_e32 v0, v1, v0
	s_waitcnt vmcnt(0)
	v_fma_f32 v3, -v8, v6, v7
	v_fma_f32 v4, v9, v6, -v0
	v_fma_f32 v10, v8, v6, v7
	v_fma_f32 v1, v9, v6, v0
	v_fmac_f32_e32 v3, v5, v9
	v_fmac_f32_e32 v4, v8, v5
	v_fma_f32 v0, -v5, v9, v10
	v_fmac_f32_e32 v1, v8, v5
	ds_write_b64 v2, v[3:4] offset:1456
.LBB0_15:
	s_andn2_saveexec_b32 s1, s4
	s_cbranch_execz .LBB0_17
; %bb.16:
	ds_read_b64 v[3:4], v56 offset:728
	s_waitcnt lgkmcnt(0)
	v_add_f32_e32 v3, v3, v3
	v_mul_f32_e32 v4, -2.0, v4
	ds_write_b64 v56, v[3:4] offset:728
.LBB0_17:
	s_or_b32 exec_lo, exec_lo, s1
	v_mov_b32_e32 v49, 0
	s_add_u32 s1, s8, 0x548
	s_addc_u32 s4, s9, 0
	v_lshlrev_b64 v[3:4], 3, v[48:49]
	v_add_co_u32 v3, s1, s1, v3
	v_add_co_ci_u32_e64 v4, s1, s4, v4, s1
	s_clause 0x5
	global_load_dwordx2 v[5:6], v[3:4], off offset:104
	global_load_dwordx2 v[7:8], v[3:4], off offset:208
	;; [unrolled: 1-line block ×6, first 2 shown]
	ds_write_b64 v57, v[0:1]
	ds_read_b64 v[0:1], v57 offset:104
	ds_read_b64 v[15:16], v2 offset:1352
	s_waitcnt lgkmcnt(0)
	v_add_f32_e32 v17, v0, v15
	v_add_f32_e32 v18, v16, v1
	v_sub_f32_e32 v19, v0, v15
	v_sub_f32_e32 v0, v1, v16
	s_waitcnt vmcnt(5)
	v_fma_f32 v20, v19, v6, v17
	v_fma_f32 v1, v18, v6, v0
	v_fma_f32 v15, -v19, v6, v17
	v_fma_f32 v16, v18, v6, -v0
	v_fma_f32 v0, -v5, v18, v20
	v_fmac_f32_e32 v1, v19, v5
	v_fmac_f32_e32 v15, v5, v18
	v_fmac_f32_e32 v16, v19, v5
	ds_write_b64 v57, v[0:1] offset:104
	ds_write_b64 v2, v[15:16] offset:1352
	ds_read_b64 v[0:1], v57 offset:208
	ds_read_b64 v[5:6], v2 offset:1248
	s_waitcnt lgkmcnt(0)
	v_add_f32_e32 v15, v0, v5
	v_add_f32_e32 v16, v6, v1
	v_sub_f32_e32 v17, v0, v5
	v_sub_f32_e32 v0, v1, v6
	s_waitcnt vmcnt(4)
	v_fma_f32 v18, v17, v8, v15
	v_fma_f32 v1, v16, v8, v0
	v_fma_f32 v5, -v17, v8, v15
	v_fma_f32 v6, v16, v8, -v0
	v_fma_f32 v0, -v7, v16, v18
	v_fmac_f32_e32 v1, v17, v7
	v_fmac_f32_e32 v5, v7, v16
	v_fmac_f32_e32 v6, v17, v7
	ds_write_b64 v57, v[0:1] offset:208
	ds_write_b64 v2, v[5:6] offset:1248
	;; [unrolled: 18-line block ×3, first 2 shown]
	ds_read_b64 v[0:1], v57 offset:416
	ds_read_b64 v[5:6], v2 offset:1040
	s_waitcnt lgkmcnt(0)
	v_add_f32_e32 v7, v0, v5
	v_add_f32_e32 v8, v6, v1
	v_sub_f32_e32 v9, v0, v5
	v_sub_f32_e32 v0, v1, v6
	s_waitcnt vmcnt(2)
	v_fma_f32 v10, v9, v12, v7
	v_fma_f32 v1, v8, v12, v0
	v_fma_f32 v5, -v9, v12, v7
	v_fma_f32 v6, v8, v12, -v0
	v_mul_u32_u24_e32 v12, 0x68, v48
	v_fma_f32 v0, -v11, v8, v10
	v_fmac_f32_e32 v1, v9, v11
	v_fmac_f32_e32 v5, v11, v8
	;; [unrolled: 1-line block ×3, first 2 shown]
	ds_write_b64 v57, v[0:1] offset:416
	ds_write_b64 v2, v[5:6] offset:1040
	ds_read_b64 v[0:1], v57 offset:520
	ds_read_b64 v[5:6], v2 offset:936
	v_add3_u32 v61, 0, v12, v58
	s_waitcnt lgkmcnt(0)
	v_add_f32_e32 v7, v0, v5
	v_add_f32_e32 v8, v6, v1
	v_sub_f32_e32 v9, v0, v5
	v_sub_f32_e32 v0, v1, v6
	s_waitcnt vmcnt(1)
	v_fma_f32 v10, v9, v14, v7
	v_fma_f32 v1, v8, v14, v0
	v_fma_f32 v5, -v9, v14, v7
	v_fma_f32 v6, v8, v14, -v0
	v_fma_f32 v0, -v13, v8, v10
	v_fmac_f32_e32 v1, v9, v13
	v_fmac_f32_e32 v5, v13, v8
	v_fmac_f32_e32 v6, v9, v13
	ds_write_b64 v57, v[0:1] offset:520
	ds_write_b64 v2, v[5:6] offset:936
	ds_read_b64 v[0:1], v57 offset:624
	ds_read_b64 v[5:6], v2 offset:832
	s_waitcnt lgkmcnt(0)
	v_add_f32_e32 v7, v0, v5
	v_add_f32_e32 v8, v6, v1
	v_sub_f32_e32 v9, v0, v5
	v_sub_f32_e32 v0, v1, v6
	s_waitcnt vmcnt(0)
	v_fma_f32 v10, v9, v4, v7
	v_fma_f32 v1, v8, v4, v0
	v_fma_f32 v5, -v9, v4, v7
	v_fma_f32 v6, v8, v4, -v0
	v_lshl_add_u32 v4, v48, 3, 0
	v_fma_f32 v0, -v3, v8, v10
	v_fmac_f32_e32 v1, v9, v3
	v_fmac_f32_e32 v5, v3, v8
	;; [unrolled: 1-line block ×3, first 2 shown]
	v_add_nc_u32_e32 v49, v4, v58
	ds_write_b64 v57, v[0:1] offset:624
	ds_write_b64 v2, v[5:6] offset:832
	s_waitcnt lgkmcnt(0)
	s_barrier
	buffer_gl0_inv
	s_barrier
	buffer_gl0_inv
	ds_read2_b64 v[0:3], v49 offset0:13 offset1:14
	ds_read2_b64 v[4:7], v49 offset0:167 offset1:168
	;; [unrolled: 1-line block ×6, first 2 shown]
	ds_read_b64 v[59:60], v57
	ds_read2_b64 v[36:39], v49 offset0:55 offset1:56
	ds_read2_b64 v[32:35], v49 offset0:69 offset1:70
	;; [unrolled: 1-line block ×6, first 2 shown]
	ds_read_b64 v[54:55], v49 offset:1448
	s_waitcnt lgkmcnt(0)
	s_barrier
	buffer_gl0_inv
	v_add_f32_e32 v71, v15, v47
	v_sub_f32_e32 v73, v47, v15
	v_add_f32_e32 v70, v14, v46
	v_sub_f32_e32 v72, v46, v14
	v_sub_f32_e32 v74, v39, v19
	v_add_f32_e32 v76, v19, v39
	v_add_f32_e32 v62, v6, v2
	;; [unrolled: 1-line block ×3, first 2 shown]
	v_sub_f32_e32 v64, v2, v6
	v_sub_f32_e32 v65, v3, v7
	v_add_f32_e32 v2, v59, v2
	v_add_f32_e32 v3, v60, v3
	v_add_f32_e32 v67, v11, v43
	v_sub_f32_e32 v69, v43, v11
	v_sub_f32_e32 v78, v35, v23
	v_add_f32_e32 v80, v23, v35
	v_sub_f32_e32 v82, v31, v27
	v_add_f32_e32 v84, v27, v31
	v_mul_f32_e32 v86, 0xbf52af12, v65
	v_mul_f32_e32 v87, 0x3f116cb1, v63
	;; [unrolled: 1-line block ×10, first 2 shown]
	v_add_f32_e32 v2, v2, v42
	v_add_f32_e32 v3, v3, v43
	v_add_f32_e32 v66, v10, v42
	v_sub_f32_e32 v68, v42, v10
	v_add_f32_e32 v75, v18, v38
	v_sub_f32_e32 v77, v38, v18
	v_add_f32_e32 v79, v22, v34
	;; [unrolled: 2-line block ×3, first 2 shown]
	v_sub_f32_e32 v85, v30, v26
	v_mul_f32_e32 v88, 0xbf6f5d39, v69
	v_mul_f32_e32 v89, 0xbeb58ec6, v67
	v_mul_f32_e32 v90, 0xbe750f2a, v73
	v_mul_f32_e32 v91, 0xbf788fa5, v71
	v_mul_f32_e32 v92, 0x3f29c268, v74
	v_mul_f32_e32 v93, 0xbf3f9e67, v76
	v_mul_f32_e32 v95, 0xbe750f2a, v69
	v_mul_f32_e32 v97, 0xbf788fa5, v67
	v_mul_f32_e32 v98, 0x3f6f5d39, v73
	v_mul_f32_e32 v99, 0xbeb58ec6, v71
	v_mul_f32_e32 v100, 0x3eedf032, v74
	v_mul_f32_e32 v101, 0x3f62ad3f, v76
	v_mul_f32_e32 v103, 0x3f29c268, v69
	v_mul_f32_e32 v105, 0xbf3f9e67, v67
	v_mul_f32_e32 v106, 0x3eedf032, v73
	v_mul_f32_e32 v107, 0x3f62ad3f, v71
	v_mul_f32_e32 v108, 0xbf7e222b, v74
	v_mul_f32_e32 v109, 0x3df6dbef, v76
	v_mul_f32_e32 v111, 0x3f7e222b, v69
	v_mul_f32_e32 v113, 0x3df6dbef, v67
	v_mul_f32_e32 v114, 0xbf52af12, v73
	v_mul_f32_e32 v115, 0x3f116cb1, v71
	v_mul_f32_e32 v116, 0x3e750f2a, v74
	v_mul_f32_e32 v117, 0xbf788fa5, v76
	v_mul_f32_e32 v119, 0x3eedf032, v69
	v_mul_f32_e32 v121, 0x3f62ad3f, v67
	v_mul_f32_e32 v122, 0xbf29c268, v73
	v_mul_f32_e32 v123, 0xbf3f9e67, v71
	v_mul_f32_e32 v124, 0x3f52af12, v74
	v_mul_f32_e32 v125, 0x3f116cb1, v76
	v_mul_f32_e32 v65, 0xbeedf032, v65
	v_mul_f32_e32 v69, 0xbf52af12, v69
	v_mul_f32_e32 v63, 0x3f62ad3f, v63
	v_mul_f32_e32 v67, 0x3f116cb1, v67
	v_mul_f32_e32 v73, 0xbf7e222b, v73
	v_mul_f32_e32 v71, 0x3df6dbef, v71
	v_mul_f32_e32 v74, 0xbf6f5d39, v74
	v_mul_f32_e32 v76, 0xbeb58ec6, v76
	v_mul_f32_e32 v126, 0x3f7e222b, v78
	v_mul_f32_e32 v127, 0xbf52af12, v78
	v_mul_f32_e32 v128, 0x3e750f2a, v78
	v_mul_f32_e32 v129, 0x3eedf032, v78
	v_mul_f32_e32 v130, 0xbf6f5d39, v78
	v_mul_f32_e32 v78, 0xbf29c268, v78
	v_mul_f32_e32 v131, 0x3df6dbef, v80
	v_mul_f32_e32 v132, 0x3f116cb1, v80
	v_mul_f32_e32 v133, 0xbf788fa5, v80
	v_mul_f32_e32 v134, 0x3f62ad3f, v80
	v_mul_f32_e32 v135, 0xbeb58ec6, v80
	v_mul_f32_e32 v80, 0xbf3f9e67, v80
	v_mul_f32_e32 v136, 0x3eedf032, v82
	v_mul_f32_e32 v137, 0xbf29c268, v82
	v_mul_f32_e32 v138, 0x3f52af12, v82
	v_mul_f32_e32 v139, 0xbf6f5d39, v82
	v_mul_f32_e32 v140, 0x3f7e222b, v82
	v_mul_f32_e32 v82, 0xbe750f2a, v82
	v_mul_f32_e32 v141, 0x3f62ad3f, v84
	v_mul_f32_e32 v142, 0xbf3f9e67, v84
	v_mul_f32_e32 v143, 0x3f116cb1, v84
	v_mul_f32_e32 v144, 0xbeb58ec6, v84
	v_mul_f32_e32 v145, 0x3df6dbef, v84
	v_mul_f32_e32 v84, 0xbf788fa5, v84
	v_fmamk_f32 v42, v62, 0x3f116cb1, v86
	v_fmamk_f32 v43, v64, 0x3f52af12, v87
	v_fmamk_f32 v151, v62, 0x3df6dbef, v94
	v_fmamk_f32 v153, v64, 0x3f7e222b, v96
	v_fmamk_f32 v158, v62, 0xbeb58ec6, v102
	v_fmamk_f32 v160, v64, 0x3f6f5d39, v104
	v_fmamk_f32 v166, v62, 0xbf3f9e67, v110
	v_fmamk_f32 v168, v64, 0x3f29c268, v112
	v_fmamk_f32 v174, v62, 0xbf788fa5, v118
	v_fmamk_f32 v176, v64, 0x3e750f2a, v120
	v_fma_f32 v118, 0xbf788fa5, v62, -v118
	v_fmac_f32_e32 v120, 0xbe750f2a, v64
	v_fma_f32 v102, 0xbeb58ec6, v62, -v102
	v_fmac_f32_e32 v104, 0xbf6f5d39, v64
	v_fma_f32 v110, 0xbf3f9e67, v62, -v110
	v_fma_f32 v86, 0x3f116cb1, v62, -v86
	;; [unrolled: 1-line block ×3, first 2 shown]
	v_add_f32_e32 v2, v2, v46
	v_add_f32_e32 v3, v3, v47
	v_fmamk_f32 v146, v66, 0xbeb58ec6, v88
	v_fmamk_f32 v147, v68, 0x3f6f5d39, v89
	;; [unrolled: 1-line block ×25, first 2 shown]
	v_fmac_f32_e32 v112, 0xbf29c268, v64
	v_fmac_f32_e32 v87, 0xbf52af12, v64
	;; [unrolled: 1-line block ×3, first 2 shown]
	v_fmamk_f32 v179, v62, 0x3f62ad3f, v65
	v_fma_f32 v62, 0x3f62ad3f, v62, -v65
	v_fmamk_f32 v65, v64, 0x3eedf032, v63
	v_fmac_f32_e32 v63, 0xbeedf032, v64
	v_fmamk_f32 v64, v72, 0x3f29c268, v123
	v_fmamk_f32 v180, v75, 0x3f116cb1, v124
	v_fma_f32 v119, 0x3f62ad3f, v66, -v119
	v_fmac_f32_e32 v121, 0x3eedf032, v68
	v_fma_f32 v122, 0xbf3f9e67, v70, -v122
	v_fmac_f32_e32 v123, 0xbf29c268, v72
	v_fma_f32 v124, 0x3f116cb1, v75, -v124
	v_fma_f32 v103, 0xbf3f9e67, v66, -v103
	v_fmac_f32_e32 v105, 0x3f29c268, v68
	v_fma_f32 v106, 0x3f62ad3f, v70, -v106
	v_fmac_f32_e32 v107, 0x3eedf032, v72
	v_fma_f32 v108, 0x3df6dbef, v75, -v108
	;; [unrolled: 5-line block ×5, first 2 shown]
	v_fmamk_f32 v181, v66, 0x3f116cb1, v69
	v_fma_f32 v66, 0x3f116cb1, v66, -v69
	v_fmamk_f32 v69, v68, 0x3f52af12, v67
	v_fmac_f32_e32 v67, 0xbf52af12, v68
	v_fmamk_f32 v68, v70, 0x3df6dbef, v73
	v_fma_f32 v70, 0x3df6dbef, v70, -v73
	v_fmamk_f32 v73, v72, 0x3f7e222b, v71
	v_fmac_f32_e32 v71, 0xbf7e222b, v72
	;; [unrolled: 4-line block ×3, first 2 shown]
	v_fmac_f32_e32 v109, 0xbf7e222b, v77
	v_fmac_f32_e32 v117, 0x3e750f2a, v77
	v_fmamk_f32 v182, v77, 0xbf29c268, v93
	v_fmac_f32_e32 v93, 0x3f29c268, v77
	v_fmamk_f32 v183, v77, 0xbeedf032, v101
	;; [unrolled: 2-line block ×4, first 2 shown]
	v_fma_f32 v130, 0xbeb58ec6, v79, -v130
	v_fmamk_f32 v185, v79, 0xbf788fa5, v128
	v_fma_f32 v128, 0xbf788fa5, v79, -v128
	v_fmamk_f32 v186, v79, 0x3f62ad3f, v129
	;; [unrolled: 2-line block ×6, first 2 shown]
	v_fmac_f32_e32 v135, 0xbf6f5d39, v81
	v_fmamk_f32 v190, v81, 0xbe750f2a, v133
	v_fmac_f32_e32 v133, 0x3e750f2a, v81
	v_fmamk_f32 v191, v81, 0xbeedf032, v134
	;; [unrolled: 2-line block ×6, first 2 shown]
	v_fma_f32 v140, 0x3df6dbef, v83, -v140
	v_fmamk_f32 v195, v83, 0x3f116cb1, v138
	v_fma_f32 v138, 0x3f116cb1, v83, -v138
	v_fmamk_f32 v196, v83, 0xbeb58ec6, v139
	;; [unrolled: 2-line block ×6, first 2 shown]
	v_fmac_f32_e32 v145, 0x3f7e222b, v85
	v_fmamk_f32 v200, v85, 0xbf52af12, v143
	v_fmac_f32_e32 v143, 0x3f52af12, v85
	v_fmamk_f32 v201, v85, 0x3f6f5d39, v144
	;; [unrolled: 2-line block ×5, first 2 shown]
	v_fmac_f32_e32 v84, 0xbe750f2a, v85
	v_add_f32_e32 v42, v59, v42
	v_add_f32_e32 v43, v60, v43
	;; [unrolled: 1-line block ×158, first 2 shown]
	ds_write2_b64 v61, v[2:3], v[22:23] offset0:2 offset1:3
	v_add_f32_e32 v2, v63, v6
	v_add_f32_e32 v3, v62, v7
	;; [unrolled: 1-line block ×4, first 2 shown]
	ds_write2_b64 v61, v[26:27], v[30:31] offset0:4 offset1:5
	ds_write2_b64 v61, v[34:35], v[38:39] offset0:6 offset1:7
	;; [unrolled: 1-line block ×4, first 2 shown]
	ds_write2_b64 v61, v[2:3], v[14:15] offset1:1
	ds_write_b64 v61, v[10:11] offset:96
	s_and_saveexec_b32 s1, s0
	s_cbranch_execz .LBB0_19
; %bb.18:
	v_add_f32_e32 v42, v55, v41
	v_sub_f32_e32 v18, v40, v54
	v_add_f32_e32 v43, v5, v45
	v_sub_f32_e32 v11, v44, v4
	v_add_f32_e32 v46, v9, v37
	v_mul_f32_e32 v47, 0xbf788fa5, v42
	v_sub_f32_e32 v14, v36, v8
	v_mul_f32_e32 v60, 0x3f62ad3f, v43
	v_add_f32_e32 v59, v13, v33
	v_mul_f32_e32 v62, 0xbf3f9e67, v46
	v_fmamk_f32 v2, v18, 0x3e750f2a, v47
	v_sub_f32_e32 v63, v41, v55
	v_fmamk_f32 v3, v11, 0xbeedf032, v60
	v_sub_f32_e32 v10, v32, v12
	v_add_f32_e32 v19, v54, v40
	v_add_f32_e32 v2, v1, v2
	v_mul_f32_e32 v64, 0x3f116cb1, v59
	v_fmamk_f32 v6, v14, 0x3f29c268, v62
	v_mul_f32_e32 v65, 0xbe750f2a, v63
	v_sub_f32_e32 v66, v45, v5
	v_add_f32_e32 v2, v3, v2
	v_add_f32_e32 v22, v4, v44
	v_fmamk_f32 v3, v10, 0xbf52af12, v64
	v_sub_f32_e32 v68, v37, v9
	v_mul_f32_e32 v67, 0x3eedf032, v66
	v_add_f32_e32 v2, v6, v2
	v_fmamk_f32 v6, v19, 0xbf788fa5, v65
	v_add_f32_e32 v61, v17, v29
	v_add_f32_e32 v23, v8, v36
	v_mul_f32_e32 v70, 0xbf29c268, v68
	v_add_f32_e32 v2, v3, v2
	v_add_f32_e32 v3, v0, v6
	v_fmamk_f32 v6, v22, 0x3f62ad3f, v67
	v_sub_f32_e32 v71, v33, v13
	v_sub_f32_e32 v15, v28, v16
	v_mul_f32_e32 v69, 0xbeb58ec6, v61
	v_add_f32_e32 v72, v21, v25
	v_add_f32_e32 v3, v6, v3
	v_fmamk_f32 v6, v23, 0xbf3f9e67, v70
	v_add_f32_e32 v27, v12, v32
	v_mul_f32_e32 v73, 0x3f52af12, v71
	v_sub_f32_e32 v75, v29, v17
	v_fmamk_f32 v7, v15, 0x3f6f5d39, v69
	v_mul_f32_e32 v74, 0x3df6dbef, v72
	v_sub_f32_e32 v26, v24, v20
	v_add_f32_e32 v3, v6, v3
	v_fmamk_f32 v6, v27, 0x3f116cb1, v73
	v_add_f32_e32 v30, v16, v28
	v_mul_f32_e32 v76, 0xbf6f5d39, v75
	v_mul_f32_e32 v77, 0xbf3f9e67, v42
	v_add_f32_e32 v2, v7, v2
	v_fmamk_f32 v7, v26, 0xbf7e222b, v74
	v_add_f32_e32 v6, v6, v3
	v_fmamk_f32 v31, v30, 0xbeb58ec6, v76
	v_fmamk_f32 v34, v18, 0x3f29c268, v77
	v_mul_f32_e32 v78, 0x3df6dbef, v43
	v_add_f32_e32 v3, v7, v2
	v_sub_f32_e32 v79, v25, v21
	v_add_f32_e32 v2, v31, v6
	v_add_f32_e32 v6, v1, v34
	v_fmamk_f32 v7, v11, 0xbf7e222b, v78
	v_mul_f32_e32 v80, 0x3f116cb1, v46
	v_mul_f32_e32 v82, 0xbf29c268, v63
	v_add_f32_e32 v31, v20, v24
	v_mul_f32_e32 v81, 0x3f7e222b, v79
	v_add_f32_e32 v6, v7, v6
	v_fmamk_f32 v7, v14, 0x3f52af12, v80
	v_mul_f32_e32 v83, 0xbf788fa5, v59
	v_fmamk_f32 v35, v19, 0xbf3f9e67, v82
	v_mul_f32_e32 v84, 0x3f7e222b, v66
	v_fmamk_f32 v34, v31, 0x3df6dbef, v81
	v_add_f32_e32 v6, v7, v6
	v_fmamk_f32 v7, v10, 0xbe750f2a, v83
	v_mul_f32_e32 v85, 0x3f62ad3f, v61
	v_add_f32_e32 v35, v0, v35
	v_fmamk_f32 v38, v22, 0x3df6dbef, v84
	v_mul_f32_e32 v86, 0xbf52af12, v68
	v_add_f32_e32 v6, v7, v6
	v_fmamk_f32 v7, v15, 0xbeedf032, v85
	v_add_f32_e32 v2, v34, v2
	v_add_f32_e32 v34, v38, v35
	v_fmamk_f32 v35, v23, 0x3f116cb1, v86
	v_mul_f32_e32 v87, 0x3e750f2a, v71
	v_mul_f32_e32 v88, 0xbeb58ec6, v72
	;; [unrolled: 1-line block ×3, first 2 shown]
	v_add_f32_e32 v6, v7, v6
	v_add_f32_e32 v7, v35, v34
	v_fmamk_f32 v34, v27, 0xbf788fa5, v87
	v_fmamk_f32 v35, v26, 0x3f6f5d39, v88
	;; [unrolled: 1-line block ×3, first 2 shown]
	v_mul_f32_e32 v91, 0xbf3f9e67, v43
	v_mul_f32_e32 v90, 0x3eedf032, v75
	v_add_f32_e32 v34, v34, v7
	v_add_f32_e32 v7, v35, v6
	;; [unrolled: 1-line block ×3, first 2 shown]
	v_fmamk_f32 v35, v11, 0xbf29c268, v91
	v_mul_f32_e32 v92, 0x3f62ad3f, v46
	v_fmamk_f32 v39, v30, 0x3f62ad3f, v90
	v_mul_f32_e32 v94, 0xbf6f5d39, v63
	v_mul_f32_e32 v95, 0x3df6dbef, v59
	v_add_f32_e32 v6, v35, v6
	v_fmamk_f32 v35, v14, 0xbeedf032, v92
	v_add_f32_e32 v34, v39, v34
	v_mul_f32_e32 v93, 0xbf6f5d39, v79
	v_fmamk_f32 v39, v19, 0xbeb58ec6, v94
	v_mul_f32_e32 v96, 0x3f29c268, v66
	v_add_f32_e32 v6, v35, v6
	v_fmamk_f32 v35, v10, 0x3f7e222b, v95
	v_mul_f32_e32 v97, 0xbf788fa5, v61
	v_fmamk_f32 v38, v31, 0xbeb58ec6, v93
	v_add_f32_e32 v39, v0, v39
	v_fmamk_f32 v98, v22, 0xbf3f9e67, v96
	v_mul_f32_e32 v99, 0x3eedf032, v68
	v_add_f32_e32 v35, v35, v6
	v_fmamk_f32 v100, v15, 0xbe750f2a, v97
	v_add_f32_e32 v6, v38, v34
	v_add_f32_e32 v34, v98, v39
	v_fmamk_f32 v38, v23, 0x3f62ad3f, v99
	v_mul_f32_e32 v98, 0xbf7e222b, v71
	v_add_f32_e32 v35, v100, v35
	v_mul_f32_e32 v100, 0x3f116cb1, v72
	v_mul_f32_e32 v101, 0x3df6dbef, v42
	v_add_f32_e32 v34, v38, v34
	v_fmamk_f32 v38, v27, 0x3df6dbef, v98
	v_mul_f32_e32 v102, 0x3e750f2a, v75
	v_fmamk_f32 v39, v26, 0xbf52af12, v100
	v_fmamk_f32 v103, v18, 0x3f7e222b, v101
	v_mul_f32_e32 v104, 0xbf788fa5, v43
	v_add_f32_e32 v34, v38, v34
	v_fmamk_f32 v38, v30, 0xbf788fa5, v102
	v_add_f32_e32 v35, v39, v35
	v_add_f32_e32 v39, v1, v103
	v_fmamk_f32 v103, v11, 0x3e750f2a, v104
	v_mul_f32_e32 v105, 0xbeb58ec6, v46
	v_mul_f32_e32 v107, 0xbf7e222b, v63
	v_add_f32_e32 v34, v38, v34
	v_mul_f32_e32 v106, 0x3f52af12, v79
	v_add_f32_e32 v38, v103, v39
	v_fmamk_f32 v39, v14, 0xbf6f5d39, v105
	v_mul_f32_e32 v103, 0x3f62ad3f, v59
	v_fmamk_f32 v109, v19, 0x3df6dbef, v107
	v_mul_f32_e32 v110, 0xbe750f2a, v66
	v_fmamk_f32 v108, v31, 0x3f116cb1, v106
	v_add_f32_e32 v38, v39, v38
	v_fmamk_f32 v39, v10, 0xbeedf032, v103
	v_mul_f32_e32 v111, 0x3f116cb1, v61
	v_add_f32_e32 v109, v0, v109
	v_fmamk_f32 v112, v22, 0xbf788fa5, v110
	v_mul_f32_e32 v113, 0x3f6f5d39, v68
	v_add_f32_e32 v38, v39, v38
	v_fmamk_f32 v39, v15, 0x3f52af12, v111
	v_add_f32_e32 v34, v108, v34
	v_add_f32_e32 v108, v112, v109
	v_fmamk_f32 v109, v23, 0xbeb58ec6, v113
	v_mul_f32_e32 v112, 0x3eedf032, v71
	v_mul_f32_e32 v114, 0x3f116cb1, v42
	v_add_f32_e32 v38, v39, v38
	v_mul_f32_e32 v115, 0xbf3f9e67, v72
	v_add_f32_e32 v39, v109, v108
	v_fmamk_f32 v108, v27, 0x3f62ad3f, v112
	v_mul_f32_e32 v109, 0xbf52af12, v75
	v_fmamk_f32 v116, v18, 0x3f52af12, v114
	v_mul_f32_e32 v117, 0xbeb58ec6, v43
	v_fmamk_f32 v118, v26, 0x3f29c268, v115
	v_add_f32_e32 v108, v108, v39
	v_fmamk_f32 v119, v30, 0x3f116cb1, v109
	v_add_f32_e32 v116, v1, v116
	v_fmamk_f32 v120, v11, 0x3f6f5d39, v117
	v_mul_f32_e32 v121, 0xbf788fa5, v46
	v_add_f32_e32 v39, v118, v38
	v_add_f32_e32 v38, v119, v108
	v_mul_f32_e32 v108, 0xbf52af12, v63
	v_add_f32_e32 v116, v120, v116
	v_fmamk_f32 v118, v14, 0x3e750f2a, v121
	v_mul_f32_e32 v119, 0xbf3f9e67, v59
	v_add_f32_e32 v134, v1, v41
	v_fmamk_f32 v122, v19, 0x3f116cb1, v108
	;; [unrolled: 3-line block ×3, first 2 shown]
	v_mul_f32_e32 v124, 0x3df6dbef, v61
	v_add_f32_e32 v45, v134, v45
	v_add_f32_e32 v40, v0, v40
	;; [unrolled: 1-line block ×3, first 2 shown]
	v_fmamk_f32 v125, v22, 0xbeb58ec6, v123
	v_mul_f32_e32 v126, 0xbe750f2a, v68
	v_add_f32_e32 v116, v118, v116
	v_fmamk_f32 v118, v15, 0xbf7e222b, v124
	v_add_f32_e32 v37, v45, v37
	v_add_f32_e32 v40, v40, v44
	v_mul_f32_e32 v120, 0xbf29c268, v79
	v_add_f32_e32 v122, v125, v122
	v_fmamk_f32 v125, v23, 0xbf788fa5, v126
	v_mul_f32_e32 v128, 0x3f29c268, v71
	v_add_f32_e32 v116, v118, v116
	v_mul_f32_e32 v118, 0x3f62ad3f, v42
	v_add_f32_e32 v33, v37, v33
	v_add_f32_e32 v36, v40, v36
	v_fmamk_f32 v127, v31, 0xbf3f9e67, v120
	v_add_f32_e32 v42, v125, v122
	v_fmamk_f32 v122, v27, 0xbf3f9e67, v128
	v_mul_f32_e32 v125, 0x3f7e222b, v75
	v_fmamk_f32 v129, v18, 0x3eedf032, v118
	v_mul_f32_e32 v43, 0x3f116cb1, v43
	v_add_f32_e32 v29, v33, v29
	v_add_f32_e32 v32, v36, v32
	;; [unrolled: 1-line block ×3, first 2 shown]
	v_mul_f32_e32 v127, 0x3f62ad3f, v72
	v_add_f32_e32 v42, v122, v42
	v_fmamk_f32 v122, v30, 0x3df6dbef, v125
	v_mul_f32_e32 v130, 0x3eedf032, v79
	v_add_f32_e32 v129, v1, v129
	v_fmamk_f32 v131, v11, 0x3f52af12, v43
	v_mul_f32_e32 v46, 0x3df6dbef, v46
	v_add_f32_e32 v25, v29, v25
	v_add_f32_e32 v28, v32, v28
	v_fmamk_f32 v132, v26, 0xbeedf032, v127
	v_add_f32_e32 v122, v122, v42
	v_fmamk_f32 v133, v31, 0x3f62ad3f, v130
	;; [unrolled: 2-line block ×3, first 2 shown]
	v_mul_f32_e32 v59, 0xbeb58ec6, v59
	v_add_f32_e32 v21, v25, v21
	v_add_f32_e32 v24, v28, v24
	;; [unrolled: 1-line block ×5, first 2 shown]
	v_fmamk_f32 v122, v10, 0x3f6f5d39, v59
	v_mul_f32_e32 v61, 0xbf3f9e67, v61
	v_mul_f32_e32 v63, 0xbeedf032, v63
	v_add_f32_e32 v21, v21, v17
	v_add_f32_e32 v20, v24, v20
	;; [unrolled: 1-line block ×3, first 2 shown]
	v_fmamk_f32 v45, v15, 0x3f29c268, v61
	v_fmamk_f32 v116, v19, 0x3f62ad3f, v63
	v_mul_f32_e32 v37, 0xbf52af12, v66
	v_add_f32_e32 v13, v21, v13
	v_add_f32_e32 v16, v20, v16
	v_fmac_f32_e32 v47, 0xbe750f2a, v18
	v_add_f32_e32 v40, v45, v44
	v_add_f32_e32 v44, v0, v116
	v_fmamk_f32 v33, v22, 0x3f116cb1, v37
	v_mul_f32_e32 v36, 0xbf7e222b, v68
	v_mul_f32_e32 v45, 0xbf788fa5, v72
	v_add_f32_e32 v9, v13, v9
	v_add_f32_e32 v12, v16, v12
	;; [unrolled: 1-line block ×3, first 2 shown]
	v_fmac_f32_e32 v60, 0x3eedf032, v11
	v_add_f32_e32 v29, v33, v44
	v_fmamk_f32 v32, v23, 0x3df6dbef, v36
	v_mul_f32_e32 v33, 0xbf6f5d39, v71
	v_fmamk_f32 v25, v26, 0x3e750f2a, v45
	v_add_f32_e32 v5, v9, v5
	v_add_f32_e32 v8, v12, v8
	;; [unrolled: 1-line block ×3, first 2 shown]
	v_fmac_f32_e32 v62, 0xbf29c268, v14
	v_add_f32_e32 v28, v32, v29
	v_fmamk_f32 v29, v27, 0xbeb58ec6, v33
	v_add_f32_e32 v17, v25, v40
	v_mul_f32_e32 v25, 0xbf29c268, v75
	v_fma_f32 v12, 0xbf788fa5, v19, -v65
	v_add_f32_e32 v4, v8, v4
	v_add_f32_e32 v8, v62, v9
	v_fmac_f32_e32 v64, 0x3f52af12, v10
	v_add_f32_e32 v24, v29, v28
	v_fmamk_f32 v20, v30, 0xbf3f9e67, v25
	v_mul_f32_e32 v28, 0xbe750f2a, v79
	v_add_f32_e32 v9, v0, v12
	v_fma_f32 v12, 0x3f62ad3f, v22, -v67
	v_add_f32_e32 v8, v64, v8
	v_fmac_f32_e32 v69, 0xbf6f5d39, v15
	v_add_f32_e32 v16, v20, v24
	v_fmamk_f32 v20, v31, 0xbf788fa5, v28
	v_add_f32_e32 v9, v12, v9
	v_fma_f32 v12, 0xbf3f9e67, v23, -v70
	v_add_f32_e32 v8, v69, v8
	v_fmac_f32_e32 v74, 0x3f7e222b, v26
	v_add_f32_e32 v16, v20, v16
	v_fma_f32 v20, 0x3f116cb1, v27, -v73
	v_add_f32_e32 v12, v12, v9
	v_fma_f32 v21, 0x3df6dbef, v22, -v84
	;; [unrolled: 2-line block ×3, first 2 shown]
	v_fma_f32 v24, 0x3f116cb1, v23, -v86
	v_add_f32_e32 v12, v20, v12
	v_fma_f32 v20, 0xbeb58ec6, v30, -v76
	v_fmac_f32_e32 v89, 0xbf6f5d39, v18
	v_add_f32_e32 v8, v0, v8
	v_fmac_f32_e32 v91, 0x3f29c268, v11
	v_fmac_f32_e32 v101, 0xbf7e222b, v18
	v_add_f32_e32 v12, v20, v12
	v_fma_f32 v20, 0x3df6dbef, v31, -v81
	v_add_f32_e32 v21, v21, v8
	v_add_f32_e32 v29, v1, v89
	v_add_f32_e32 v32, v1, v101
	v_fmac_f32_e32 v104, 0xbe750f2a, v11
	v_add_f32_e32 v8, v20, v12
	v_add_f32_e32 v12, v24, v21
	v_fma_f32 v20, 0xbf788fa5, v27, -v87
	v_fma_f32 v24, 0xbeb58ec6, v19, -v94
	v_add_f32_e32 v21, v91, v29
	v_fma_f32 v29, 0xbeb58ec6, v31, -v93
	v_fma_f32 v44, 0x3f116cb1, v31, -v106
	v_add_f32_e32 v12, v20, v12
	v_fma_f32 v20, 0x3f62ad3f, v30, -v90
	v_fmac_f32_e32 v77, 0xbf29c268, v18
	v_fmac_f32_e32 v114, 0xbf52af12, v18
	;; [unrolled: 1-line block ×3, first 2 shown]
	v_fma_f32 v18, 0x3f62ad3f, v19, -v63
	v_add_f32_e32 v12, v20, v12
	v_add_f32_e32 v20, v0, v24
	v_fma_f32 v24, 0xbf3f9e67, v22, -v96
	v_add_f32_e32 v13, v1, v77
	v_fmac_f32_e32 v78, 0x3f7e222b, v11
	v_add_f32_e32 v12, v29, v12
	v_add_f32_e32 v29, v104, v32
	;; [unrolled: 1-line block ×3, first 2 shown]
	v_fma_f32 v24, 0x3f62ad3f, v23, -v99
	v_fma_f32 v32, 0xbf788fa5, v30, -v102
	v_fmac_f32_e32 v105, 0x3f6f5d39, v14
	v_fma_f32 v40, 0xbf788fa5, v22, -v110
	v_fmac_f32_e32 v117, 0xbf6f5d39, v11
	v_add_f32_e32 v20, v24, v20
	v_fma_f32 v24, 0x3df6dbef, v27, -v98
	v_fmac_f32_e32 v43, 0xbf52af12, v11
	v_fma_f32 v11, 0x3f116cb1, v22, -v37
	v_add_f32_e32 v13, v78, v13
	v_fmac_f32_e32 v80, 0xbf52af12, v14
	v_add_f32_e32 v20, v24, v20
	v_fma_f32 v24, 0x3df6dbef, v19, -v107
	v_fmac_f32_e32 v92, 0x3eedf032, v14
	v_add_f32_e32 v29, v105, v29
	v_fmac_f32_e32 v103, 0x3eedf032, v10
	v_add_f32_e32 v20, v32, v20
	v_add_f32_e32 v24, v0, v24
	;; [unrolled: 1-line block ×4, first 2 shown]
	v_fmac_f32_e32 v121, 0xbe750f2a, v14
	v_add_f32_e32 v20, v44, v20
	v_fma_f32 v44, 0x3f116cb1, v19, -v108
	v_add_f32_e32 v24, v40, v24
	v_fma_f32 v40, 0xbeb58ec6, v23, -v113
	v_add_f32_e32 v32, v117, v32
	v_add_f32_e32 v1, v43, v1
	;; [unrolled: 1-line block ×3, first 2 shown]
	v_fma_f32 v44, 0xbeb58ec6, v22, -v123
	v_add_f32_e32 v0, v0, v18
	v_fmac_f32_e32 v46, 0xbf7e222b, v14
	v_add_f32_e32 v13, v80, v13
	v_fmac_f32_e32 v83, 0x3e750f2a, v10
	v_add_f32_e32 v18, v44, v19
	v_fma_f32 v19, 0xbf788fa5, v23, -v126
	v_add_f32_e32 v0, v11, v0
	v_fma_f32 v11, 0x3df6dbef, v23, -v36
	v_add_f32_e32 v21, v92, v21
	v_fmac_f32_e32 v95, 0xbf7e222b, v10
	v_add_f32_e32 v29, v103, v29
	v_fmac_f32_e32 v111, 0xbf52af12, v15
	v_add_f32_e32 v24, v40, v24
	v_fma_f32 v40, 0x3f62ad3f, v27, -v112
	v_add_f32_e32 v32, v121, v32
	v_fmac_f32_e32 v119, 0x3f29c268, v10
	v_add_f32_e32 v14, v19, v18
	v_fma_f32 v18, 0xbf3f9e67, v27, -v128
	;; [unrolled: 4-line block ×3, first 2 shown]
	v_add_f32_e32 v13, v83, v13
	v_fmac_f32_e32 v85, 0x3eedf032, v15
	v_add_f32_e32 v21, v95, v21
	v_fmac_f32_e32 v97, 0x3e750f2a, v15
	;; [unrolled: 2-line block ×3, first 2 shown]
	v_add_f32_e32 v40, v40, v24
	v_fma_f32 v47, 0x3f116cb1, v30, -v109
	v_add_f32_e32 v32, v119, v32
	v_fmac_f32_e32 v124, 0x3f7e222b, v15
	v_add_f32_e32 v11, v18, v14
	v_fma_f32 v14, 0x3df6dbef, v30, -v125
	v_add_f32_e32 v1, v59, v1
	v_fmac_f32_e32 v61, 0xbf29c268, v15
	;; [unrolled: 4-line block ×3, first 2 shown]
	v_add_f32_e32 v21, v97, v21
	v_fmac_f32_e32 v100, 0x3f52af12, v26
	v_add_f32_e32 v5, v5, v55
	v_add_f32_e32 v4, v4, v54
	v_add_f32_e32 v24, v115, v29
	v_add_f32_e32 v29, v47, v40
	v_fma_f32 v40, 0xbf3f9e67, v31, -v120
	v_add_f32_e32 v32, v124, v32
	v_fmac_f32_e32 v127, 0x3eedf032, v26
	v_add_f32_e32 v11, v14, v11
	v_fma_f32 v14, 0x3f62ad3f, v31, -v130
	v_add_f32_e32 v15, v61, v1
	v_fmac_f32_e32 v45, 0xbe750f2a, v26
	v_add_f32_e32 v10, v10, v0
	v_fma_f32 v18, 0xbf788fa5, v31, -v28
	v_add_f32_e32 v13, v88, v13
	v_add_f32_e32 v21, v100, v21
	;; [unrolled: 1-line block ×7, first 2 shown]
	ds_write2_b64 v56, v[4:5], v[16:17] offset0:169 offset1:170
	ds_write2_b64 v56, v[41:42], v[38:39] offset0:171 offset1:172
	;; [unrolled: 1-line block ×6, first 2 shown]
	ds_write_b64 v56, v[10:11] offset:1448
.LBB0_19:
	s_or_b32 exec_lo, exec_lo, s1
	v_add_nc_u16 v2, v48, 26
	v_add_nc_u16 v4, v48, 39
	v_add_co_u32 v0, s0, s8, v52
	v_add_nc_u16 v5, v48, 52
	v_and_b32_e32 v3, 0xff, v2
	v_add_nc_u16 v6, v48, 0x41
	v_add_co_ci_u32_e64 v1, s0, s9, v53, s0
	v_add_nc_u16 v7, v48, 0x4e
	v_mul_lo_u16 v3, 0x4f, v3
	v_and_b32_e32 v8, 0xff, v4
	v_and_b32_e32 v9, 0xff, v5
	;; [unrolled: 1-line block ×3, first 2 shown]
	s_waitcnt lgkmcnt(0)
	v_lshrrev_b16 v3, 10, v3
	s_barrier
	buffer_gl0_inv
	global_load_dwordx2 v[24:25], v[0:1], off
	v_mul_lo_u16 v0, 0x4f, v8
	v_and_b32_e32 v1, 0xff, v7
	v_mul_lo_u16 v8, 0x4f, v9
	v_mul_lo_u16 v3, v3, 13
	;; [unrolled: 1-line block ×3, first 2 shown]
	v_lshrrev_b16 v0, 10, v0
	v_mul_lo_u16 v1, 0x4f, v1
	v_lshrrev_b16 v8, 10, v8
	v_sub_nc_u16 v2, v2, v3
	v_lshrrev_b16 v3, 10, v9
	v_mul_lo_u16 v0, v0, 13
	v_lshrrev_b16 v1, 10, v1
	v_mul_lo_u16 v8, v8, 13
	v_mov_b32_e32 v9, 3
	v_mul_lo_u16 v3, v3, 13
	v_sub_nc_u16 v0, v4, v0
	v_mul_lo_u16 v1, v1, 13
	v_sub_nc_u16 v4, v5, v8
	v_lshlrev_b32_sdwa v40, v9, v2 dst_sel:DWORD dst_unused:UNUSED_PAD src0_sel:DWORD src1_sel:BYTE_0
	v_sub_nc_u16 v2, v6, v3
	v_lshlrev_b32_sdwa v41, v9, v0 dst_sel:DWORD dst_unused:UNUSED_PAD src0_sel:DWORD src1_sel:BYTE_0
	;; [unrolled: 2-line block ×3, first 2 shown]
	global_load_dwordx2 v[26:27], v40, s[8:9]
	v_lshlrev_b32_sdwa v43, v9, v2 dst_sel:DWORD dst_unused:UNUSED_PAD src0_sel:DWORD src1_sel:BYTE_0
	global_load_dwordx2 v[28:29], v41, s[8:9]
	v_lshlrev_b32_sdwa v44, v9, v0 dst_sel:DWORD dst_unused:UNUSED_PAD src0_sel:DWORD src1_sel:BYTE_0
	s_clause 0x2
	global_load_dwordx2 v[30:31], v42, s[8:9]
	global_load_dwordx2 v[32:33], v43, s[8:9]
	;; [unrolled: 1-line block ×3, first 2 shown]
	ds_read2_b64 v[0:3], v49 offset0:91 offset1:104
	ds_read2_b64 v[4:7], v49 offset0:13 offset1:26
	ds_read_b64 v[36:37], v57
	ds_read2_b64 v[8:11], v49 offset0:117 offset1:130
	ds_read2_b64 v[12:15], v49 offset0:39 offset1:52
	;; [unrolled: 1-line block ×4, first 2 shown]
	ds_read_b64 v[38:39], v49 offset:1352
	s_waitcnt vmcnt(0) lgkmcnt(0)
	s_barrier
	buffer_gl0_inv
	v_mul_u32_u24_e32 v45, 6, v48
	v_add3_u32 v40, 0, v40, v58
	v_add3_u32 v41, 0, v41, v58
	v_lshlrev_b32_e32 v45, 3, v45
	v_mul_f32_e32 v46, v25, v1
	v_mul_f32_e32 v47, v25, v0
	;; [unrolled: 1-line block ×4, first 2 shown]
	v_fmac_f32_e32 v46, v24, v0
	v_fma_f32 v1, v24, v1, -v47
	v_fmac_f32_e32 v52, v24, v2
	v_fma_f32 v3, v24, v3, -v25
	v_sub_f32_e32 v0, v36, v46
	v_sub_f32_e32 v1, v37, v1
	;; [unrolled: 1-line block ×4, first 2 shown]
	v_fma_f32 v24, v36, 2.0, -v0
	v_fma_f32 v25, v37, 2.0, -v1
	;; [unrolled: 1-line block ×4, first 2 shown]
	ds_write2_b64 v49, v[24:25], v[0:1] offset1:13
	ds_write2_b64 v49, v[4:5], v[2:3] offset0:26 offset1:39
	v_add3_u32 v36, 0, v42, v58
	v_mul_f32_e32 v0, v27, v9
	v_mul_f32_e32 v1, v27, v8
	;; [unrolled: 1-line block ×10, first 2 shown]
	v_fmac_f32_e32 v0, v26, v8
	v_fma_f32 v1, v26, v9, -v1
	v_fmac_f32_e32 v2, v28, v10
	v_fma_f32 v3, v28, v11, -v3
	;; [unrolled: 2-line block ×5, first 2 shown]
	v_sub_f32_e32 v0, v6, v0
	v_sub_f32_e32 v1, v7, v1
	;; [unrolled: 1-line block ×10, first 2 shown]
	v_fma_f32 v6, v6, 2.0, -v0
	v_fma_f32 v7, v7, 2.0, -v1
	;; [unrolled: 1-line block ×6, first 2 shown]
	v_add3_u32 v37, 0, v43, v58
	v_fma_f32 v16, v20, 2.0, -v8
	v_fma_f32 v17, v21, 2.0, -v9
	v_add3_u32 v42, 0, v44, v58
	v_fma_f32 v18, v22, 2.0, -v10
	v_fma_f32 v19, v23, 2.0, -v11
	ds_write2_b64 v40, v[6:7], v[0:1] offset0:52 offset1:65
	ds_write2_b64 v41, v[12:13], v[2:3] offset0:78 offset1:91
	;; [unrolled: 1-line block ×5, first 2 shown]
	s_waitcnt lgkmcnt(0)
	s_barrier
	buffer_gl0_inv
	s_clause 0x5
	global_load_dwordx4 v[0:3], v45, s[8:9] offset:104
	global_load_dwordx4 v[4:7], v45, s[8:9] offset:120
	;; [unrolled: 1-line block ×6, first 2 shown]
	ds_read2_b64 v[24:27], v49 offset0:13 offset1:26
	ds_read2_b64 v[28:31], v49 offset0:39 offset1:52
	;; [unrolled: 1-line block ×6, first 2 shown]
	ds_read_b64 v[52:53], v57
	ds_read_b64 v[54:55], v49 offset:1352
	s_waitcnt vmcnt(0) lgkmcnt(0)
	s_barrier
	buffer_gl0_inv
	v_mul_f32_e32 v57, v1, v27
	v_mul_f32_e32 v1, v1, v26
	;; [unrolled: 1-line block ×24, first 2 shown]
	v_fmac_f32_e32 v57, v0, v26
	v_fma_f32 v0, v0, v27, -v1
	v_fmac_f32_e32 v58, v2, v30
	v_fma_f32 v1, v2, v31, -v3
	;; [unrolled: 2-line block ×12, first 2 shown]
	v_add_f32_e32 v12, v57, v62
	v_add_f32_e32 v13, v0, v5
	v_sub_f32_e32 v0, v0, v5
	v_add_f32_e32 v5, v58, v61
	v_add_f32_e32 v15, v1, v4
	v_sub_f32_e32 v16, v58, v61
	v_sub_f32_e32 v1, v1, v4
	v_add_f32_e32 v4, v59, v60
	v_add_f32_e32 v17, v2, v3
	v_sub_f32_e32 v18, v60, v59
	;; [unrolled: 4-line block ×3, first 2 shown]
	v_add_f32_e32 v11, v64, v67
	v_add_f32_e32 v21, v7, v10
	v_sub_f32_e32 v14, v57, v62
	v_sub_f32_e32 v22, v64, v67
	;; [unrolled: 1-line block ×3, first 2 shown]
	v_add_f32_e32 v10, v65, v66
	v_add_f32_e32 v23, v8, v9
	v_sub_f32_e32 v26, v66, v65
	v_sub_f32_e32 v8, v9, v8
	v_add_f32_e32 v9, v5, v12
	v_add_f32_e32 v27, v15, v13
	v_sub_f32_e32 v28, v5, v12
	v_sub_f32_e32 v29, v15, v13
	;; [unrolled: 1-line block ×6, first 2 shown]
	v_add_f32_e32 v30, v18, v16
	v_add_f32_e32 v31, v2, v1
	v_sub_f32_e32 v32, v18, v16
	v_sub_f32_e32 v33, v2, v1
	;; [unrolled: 1-line block ×3, first 2 shown]
	v_add_f32_e32 v1, v11, v3
	v_add_f32_e32 v35, v21, v19
	v_sub_f32_e32 v20, v63, v68
	v_sub_f32_e32 v18, v14, v18
	;; [unrolled: 1-line block ×10, first 2 shown]
	v_add_f32_e32 v38, v26, v22
	v_add_f32_e32 v39, v8, v7
	v_sub_f32_e32 v40, v26, v22
	v_sub_f32_e32 v41, v8, v7
	;; [unrolled: 1-line block ×3, first 2 shown]
	v_add_f32_e32 v4, v4, v9
	v_add_f32_e32 v9, v17, v27
	;; [unrolled: 1-line block ×4, first 2 shown]
	v_mul_f32_e32 v12, 0x3f4a47b2, v12
	v_mul_f32_e32 v13, 0x3f4a47b2, v13
	;; [unrolled: 1-line block ×7, first 2 shown]
	v_add_f32_e32 v10, v10, v1
	v_add_f32_e32 v23, v23, v35
	v_sub_f32_e32 v22, v22, v20
	v_sub_f32_e32 v26, v20, v26
	;; [unrolled: 1-line block ×3, first 2 shown]
	v_mul_f32_e32 v33, 0xbf5ff5aa, v16
	v_add_f32_e32 v20, v38, v20
	v_add_f32_e32 v6, v39, v6
	v_mul_f32_e32 v35, 0x3f4a47b2, v3
	v_mul_f32_e32 v19, 0x3f4a47b2, v19
	;; [unrolled: 1-line block ×7, first 2 shown]
	v_add_f32_e32 v0, v4, v52
	v_add_f32_e32 v1, v9, v53
	v_fmamk_f32 v5, v5, 0x3d64c772, v12
	v_fmamk_f32 v15, v15, 0x3d64c772, v13
	v_fma_f32 v27, 0x3f3bfb3b, v28, -v27
	v_fma_f32 v30, 0x3f3bfb3b, v29, -v30
	;; [unrolled: 1-line block ×4, first 2 shown]
	v_fmamk_f32 v28, v18, 0xbeae86e6, v31
	v_fmamk_f32 v29, v2, 0xbeae86e6, v32
	v_fma_f32 v16, 0xbf5ff5aa, v16, -v31
	v_fma_f32 v31, 0xbf5ff5aa, v34, -v32
	;; [unrolled: 1-line block ×3, first 2 shown]
	v_add_f32_e32 v2, v10, v24
	v_add_f32_e32 v3, v23, v25
	v_mul_f32_e32 v43, 0xbf5ff5aa, v22
	v_fma_f32 v18, 0x3eae86e6, v18, -v33
	v_fmamk_f32 v11, v11, 0x3d64c772, v35
	v_fmamk_f32 v21, v21, 0x3d64c772, v19
	v_fma_f32 v24, 0x3f3bfb3b, v36, -v38
	v_fma_f32 v25, 0x3f3bfb3b, v37, -v39
	;; [unrolled: 1-line block ×4, first 2 shown]
	v_fmamk_f32 v34, v26, 0xbeae86e6, v40
	v_fmamk_f32 v35, v8, 0xbeae86e6, v41
	v_fma_f32 v36, 0xbf5ff5aa, v7, -v41
	v_fma_f32 v37, 0x3eae86e6, v8, -v44
	v_fmamk_f32 v4, v4, 0xbf955555, v0
	v_fmamk_f32 v7, v9, 0xbf955555, v1
	;; [unrolled: 1-line block ×4, first 2 shown]
	v_fma_f32 v22, 0xbf5ff5aa, v22, -v40
	v_fma_f32 v26, 0x3eae86e6, v26, -v43
	v_fmac_f32_e32 v28, 0xbee1c552, v14
	v_fmac_f32_e32 v29, 0xbee1c552, v17
	;; [unrolled: 1-line block ×9, first 2 shown]
	v_add_f32_e32 v10, v5, v4
	v_add_f32_e32 v14, v15, v7
	;; [unrolled: 1-line block ×7, first 2 shown]
	v_fmac_f32_e32 v22, 0xbee1c552, v20
	v_fmac_f32_e32 v26, 0xbee1c552, v20
	v_add_f32_e32 v15, v30, v7
	v_add_f32_e32 v20, v24, v8
	;; [unrolled: 1-line block ×5, first 2 shown]
	v_fmac_f32_e32 v31, 0xbee1c552, v17
	ds_write2_b64 v49, v[0:1], v[2:3] offset1:13
	v_add_f32_e32 v0, v29, v10
	v_sub_f32_e32 v1, v14, v28
	v_add_f32_e32 v2, v32, v12
	v_sub_f32_e32 v3, v13, v18
	v_sub_f32_e32 v8, v12, v32
	v_add_f32_e32 v9, v18, v13
	v_add_f32_e32 v12, v35, v23
	v_sub_f32_e32 v13, v27, v34
	v_add_f32_e32 v5, v16, v15
	v_sub_f32_e32 v7, v15, v16
	v_add_f32_e32 v11, v28, v14
	v_add_f32_e32 v14, v37, v24
	v_sub_f32_e32 v15, v25, v26
	v_sub_f32_e32 v4, v6, v31
	;; [unrolled: 1-line block ×3, first 2 shown]
	v_add_f32_e32 v17, v22, v21
	v_add_f32_e32 v6, v31, v6
	;; [unrolled: 1-line block ×3, first 2 shown]
	v_sub_f32_e32 v19, v21, v22
	v_sub_f32_e32 v20, v24, v37
	v_add_f32_e32 v21, v26, v25
	v_sub_f32_e32 v10, v10, v29
	v_sub_f32_e32 v22, v23, v35
	v_add_f32_e32 v23, v34, v27
	ds_write2_b64 v49, v[0:1], v[12:13] offset0:26 offset1:39
	ds_write2_b64 v49, v[2:3], v[14:15] offset0:52 offset1:65
	;; [unrolled: 1-line block ×6, first 2 shown]
	s_waitcnt lgkmcnt(0)
	s_barrier
	buffer_gl0_inv
	s_and_saveexec_b32 s0, vcc_lo
	s_cbranch_execz .LBB0_21
; %bb.20:
	v_lshl_add_u32 v20, v48, 3, v56
	v_mov_b32_e32 v49, 0
	v_add_nc_u32_e32 v8, 13, v48
	v_add_co_u32 v21, vcc_lo, s2, v50
	ds_read2_b64 v[0:3], v20 offset1:13
	v_mov_b32_e32 v9, v49
	v_lshlrev_b64 v[14:15], 3, v[48:49]
	v_add_nc_u32_e32 v10, 26, v48
	v_mov_b32_e32 v11, v49
	v_add_co_ci_u32_e32 v22, vcc_lo, s3, v51, vcc_lo
	v_lshlrev_b64 v[8:9], 3, v[8:9]
	v_add_nc_u32_e32 v12, 39, v48
	v_lshlrev_b64 v[16:17], 3, v[10:11]
	v_add_co_u32 v10, vcc_lo, v21, v14
	v_add_co_ci_u32_e32 v11, vcc_lo, v22, v15, vcc_lo
	v_mov_b32_e32 v13, v49
	ds_read2_b64 v[4:7], v20 offset0:26 offset1:39
	v_add_co_u32 v14, vcc_lo, v21, v8
	v_add_co_ci_u32_e32 v15, vcc_lo, v22, v9, vcc_lo
	s_waitcnt lgkmcnt(1)
	global_store_dwordx2 v[10:11], v[0:1], off
	ds_read2_b64 v[8:11], v20 offset0:52 offset1:65
	v_lshlrev_b64 v[0:1], 3, v[12:13]
	v_add_nc_u32_e32 v12, 52, v48
	v_add_co_u32 v16, vcc_lo, v21, v16
	v_add_co_ci_u32_e32 v17, vcc_lo, v22, v17, vcc_lo
	v_lshlrev_b64 v[12:13], 3, v[12:13]
	v_add_co_u32 v0, vcc_lo, v21, v0
	v_add_co_ci_u32_e32 v1, vcc_lo, v22, v1, vcc_lo
	v_add_nc_u32_e32 v18, 0x41, v48
	v_mov_b32_e32 v19, v49
	v_add_co_u32 v12, vcc_lo, v21, v12
	v_add_co_ci_u32_e32 v13, vcc_lo, v22, v13, vcc_lo
	global_store_dwordx2 v[14:15], v[2:3], off
	s_waitcnt lgkmcnt(1)
	global_store_dwordx2 v[16:17], v[4:5], off
	global_store_dwordx2 v[0:1], v[6:7], off
	s_waitcnt lgkmcnt(0)
	global_store_dwordx2 v[12:13], v[8:9], off
	v_lshlrev_b64 v[0:1], 3, v[18:19]
	v_add_nc_u32_e32 v4, 0x4e, v48
	v_mov_b32_e32 v5, v49
	v_add_nc_u32_e32 v6, 0x5b, v48
	v_mov_b32_e32 v7, v49
	v_add_nc_u32_e32 v16, 0x68, v48
	v_add_co_u32 v8, vcc_lo, v21, v0
	v_add_co_ci_u32_e32 v9, vcc_lo, v22, v1, vcc_lo
	ds_read2_b64 v[0:3], v20 offset0:78 offset1:91
	v_lshlrev_b64 v[12:13], 3, v[4:5]
	v_lshlrev_b64 v[14:15], 3, v[6:7]
	ds_read2_b64 v[4:7], v20 offset0:104 offset1:117
	v_mov_b32_e32 v17, v49
	v_add_nc_u32_e32 v18, 0x75, v48
	v_add_co_u32 v12, vcc_lo, v21, v12
	v_lshlrev_b64 v[16:17], 3, v[16:17]
	v_add_co_ci_u32_e32 v13, vcc_lo, v22, v13, vcc_lo
	v_add_co_u32 v14, vcc_lo, v21, v14
	v_add_co_ci_u32_e32 v15, vcc_lo, v22, v15, vcc_lo
	v_add_co_u32 v16, vcc_lo, v21, v16
	v_add_co_ci_u32_e32 v17, vcc_lo, v22, v17, vcc_lo
	global_store_dwordx2 v[8:9], v[10:11], off
	s_waitcnt lgkmcnt(1)
	global_store_dwordx2 v[12:13], v[0:1], off
	global_store_dwordx2 v[14:15], v[2:3], off
	s_waitcnt lgkmcnt(0)
	global_store_dwordx2 v[16:17], v[4:5], off
	v_lshlrev_b64 v[0:1], 3, v[18:19]
	v_add_nc_u32_e32 v4, 0x82, v48
	v_mov_b32_e32 v5, v49
	v_add_nc_u32_e32 v8, 0x8f, v48
	v_mov_b32_e32 v9, v49
	v_add_nc_u32_e32 v16, 0x9c, v48
	v_add_co_u32 v12, vcc_lo, v21, v0
	v_add_co_ci_u32_e32 v13, vcc_lo, v22, v1, vcc_lo
	ds_read2_b64 v[0:3], v20 offset0:130 offset1:143
	v_lshlrev_b64 v[4:5], 3, v[4:5]
	v_lshlrev_b64 v[14:15], 3, v[8:9]
	v_mov_b32_e32 v17, v49
	ds_read2_b64 v[8:11], v20 offset0:156 offset1:169
	v_add_nc_u32_e32 v48, 0xa9, v48
	v_add_co_u32 v4, vcc_lo, v21, v4
	v_lshlrev_b64 v[16:17], 3, v[16:17]
	v_add_co_ci_u32_e32 v5, vcc_lo, v22, v5, vcc_lo
	v_add_co_u32 v14, vcc_lo, v21, v14
	v_lshlrev_b64 v[18:19], 3, v[48:49]
	v_add_co_ci_u32_e32 v15, vcc_lo, v22, v15, vcc_lo
	v_add_co_u32 v16, vcc_lo, v21, v16
	v_add_co_ci_u32_e32 v17, vcc_lo, v22, v17, vcc_lo
	v_add_co_u32 v18, vcc_lo, v21, v18
	v_add_co_ci_u32_e32 v19, vcc_lo, v22, v19, vcc_lo
	global_store_dwordx2 v[12:13], v[6:7], off
	s_waitcnt lgkmcnt(1)
	global_store_dwordx2 v[4:5], v[0:1], off
	global_store_dwordx2 v[14:15], v[2:3], off
	s_waitcnt lgkmcnt(0)
	global_store_dwordx2 v[16:17], v[8:9], off
	global_store_dwordx2 v[18:19], v[10:11], off
.LBB0_21:
	s_endpgm
	.section	.rodata,"a",@progbits
	.p2align	6, 0x0
	.amdhsa_kernel fft_rtc_back_len182_factors_13_2_7_wgs_52_tpt_13_sp_ip_CI_unitstride_sbrr_C2R_dirReg
		.amdhsa_group_segment_fixed_size 0
		.amdhsa_private_segment_fixed_size 0
		.amdhsa_kernarg_size 88
		.amdhsa_user_sgpr_count 6
		.amdhsa_user_sgpr_private_segment_buffer 1
		.amdhsa_user_sgpr_dispatch_ptr 0
		.amdhsa_user_sgpr_queue_ptr 0
		.amdhsa_user_sgpr_kernarg_segment_ptr 1
		.amdhsa_user_sgpr_dispatch_id 0
		.amdhsa_user_sgpr_flat_scratch_init 0
		.amdhsa_user_sgpr_private_segment_size 0
		.amdhsa_wavefront_size32 1
		.amdhsa_uses_dynamic_stack 0
		.amdhsa_system_sgpr_private_segment_wavefront_offset 0
		.amdhsa_system_sgpr_workgroup_id_x 1
		.amdhsa_system_sgpr_workgroup_id_y 0
		.amdhsa_system_sgpr_workgroup_id_z 0
		.amdhsa_system_sgpr_workgroup_info 0
		.amdhsa_system_vgpr_workitem_id 0
		.amdhsa_next_free_vgpr 205
		.amdhsa_next_free_sgpr 21
		.amdhsa_reserve_vcc 1
		.amdhsa_reserve_flat_scratch 0
		.amdhsa_float_round_mode_32 0
		.amdhsa_float_round_mode_16_64 0
		.amdhsa_float_denorm_mode_32 3
		.amdhsa_float_denorm_mode_16_64 3
		.amdhsa_dx10_clamp 1
		.amdhsa_ieee_mode 1
		.amdhsa_fp16_overflow 0
		.amdhsa_workgroup_processor_mode 1
		.amdhsa_memory_ordered 1
		.amdhsa_forward_progress 0
		.amdhsa_shared_vgpr_count 0
		.amdhsa_exception_fp_ieee_invalid_op 0
		.amdhsa_exception_fp_denorm_src 0
		.amdhsa_exception_fp_ieee_div_zero 0
		.amdhsa_exception_fp_ieee_overflow 0
		.amdhsa_exception_fp_ieee_underflow 0
		.amdhsa_exception_fp_ieee_inexact 0
		.amdhsa_exception_int_div_zero 0
	.end_amdhsa_kernel
	.text
.Lfunc_end0:
	.size	fft_rtc_back_len182_factors_13_2_7_wgs_52_tpt_13_sp_ip_CI_unitstride_sbrr_C2R_dirReg, .Lfunc_end0-fft_rtc_back_len182_factors_13_2_7_wgs_52_tpt_13_sp_ip_CI_unitstride_sbrr_C2R_dirReg
                                        ; -- End function
	.section	.AMDGPU.csdata,"",@progbits
; Kernel info:
; codeLenInByte = 11008
; NumSgprs: 23
; NumVgprs: 205
; ScratchSize: 0
; MemoryBound: 0
; FloatMode: 240
; IeeeMode: 1
; LDSByteSize: 0 bytes/workgroup (compile time only)
; SGPRBlocks: 2
; VGPRBlocks: 25
; NumSGPRsForWavesPerEU: 23
; NumVGPRsForWavesPerEU: 205
; Occupancy: 4
; WaveLimiterHint : 1
; COMPUTE_PGM_RSRC2:SCRATCH_EN: 0
; COMPUTE_PGM_RSRC2:USER_SGPR: 6
; COMPUTE_PGM_RSRC2:TRAP_HANDLER: 0
; COMPUTE_PGM_RSRC2:TGID_X_EN: 1
; COMPUTE_PGM_RSRC2:TGID_Y_EN: 0
; COMPUTE_PGM_RSRC2:TGID_Z_EN: 0
; COMPUTE_PGM_RSRC2:TIDIG_COMP_CNT: 0
	.text
	.p2alignl 6, 3214868480
	.fill 48, 4, 3214868480
	.type	__hip_cuid_ce4b2dfbe56c0bd,@object ; @__hip_cuid_ce4b2dfbe56c0bd
	.section	.bss,"aw",@nobits
	.globl	__hip_cuid_ce4b2dfbe56c0bd
__hip_cuid_ce4b2dfbe56c0bd:
	.byte	0                               ; 0x0
	.size	__hip_cuid_ce4b2dfbe56c0bd, 1

	.ident	"AMD clang version 19.0.0git (https://github.com/RadeonOpenCompute/llvm-project roc-6.4.0 25133 c7fe45cf4b819c5991fe208aaa96edf142730f1d)"
	.section	".note.GNU-stack","",@progbits
	.addrsig
	.addrsig_sym __hip_cuid_ce4b2dfbe56c0bd
	.amdgpu_metadata
---
amdhsa.kernels:
  - .args:
      - .actual_access:  read_only
        .address_space:  global
        .offset:         0
        .size:           8
        .value_kind:     global_buffer
      - .offset:         8
        .size:           8
        .value_kind:     by_value
      - .actual_access:  read_only
        .address_space:  global
        .offset:         16
        .size:           8
        .value_kind:     global_buffer
      - .actual_access:  read_only
        .address_space:  global
        .offset:         24
        .size:           8
        .value_kind:     global_buffer
      - .offset:         32
        .size:           8
        .value_kind:     by_value
      - .actual_access:  read_only
        .address_space:  global
        .offset:         40
        .size:           8
        .value_kind:     global_buffer
      - .actual_access:  read_only
        .address_space:  global
        .offset:         48
        .size:           8
        .value_kind:     global_buffer
      - .offset:         56
        .size:           4
        .value_kind:     by_value
      - .actual_access:  read_only
        .address_space:  global
        .offset:         64
        .size:           8
        .value_kind:     global_buffer
      - .actual_access:  read_only
        .address_space:  global
        .offset:         72
        .size:           8
        .value_kind:     global_buffer
      - .address_space:  global
        .offset:         80
        .size:           8
        .value_kind:     global_buffer
    .group_segment_fixed_size: 0
    .kernarg_segment_align: 8
    .kernarg_segment_size: 88
    .language:       OpenCL C
    .language_version:
      - 2
      - 0
    .max_flat_workgroup_size: 52
    .name:           fft_rtc_back_len182_factors_13_2_7_wgs_52_tpt_13_sp_ip_CI_unitstride_sbrr_C2R_dirReg
    .private_segment_fixed_size: 0
    .sgpr_count:     23
    .sgpr_spill_count: 0
    .symbol:         fft_rtc_back_len182_factors_13_2_7_wgs_52_tpt_13_sp_ip_CI_unitstride_sbrr_C2R_dirReg.kd
    .uniform_work_group_size: 1
    .uses_dynamic_stack: false
    .vgpr_count:     205
    .vgpr_spill_count: 0
    .wavefront_size: 32
    .workgroup_processor_mode: 1
amdhsa.target:   amdgcn-amd-amdhsa--gfx1030
amdhsa.version:
  - 1
  - 2
...

	.end_amdgpu_metadata
